;; amdgpu-corpus repo=ROCm/rocFFT kind=compiled arch=gfx906 opt=O3
	.text
	.amdgcn_target "amdgcn-amd-amdhsa--gfx906"
	.amdhsa_code_object_version 6
	.protected	fft_rtc_fwd_len650_factors_10_5_13_wgs_195_tpt_65_dp_ip_CI_unitstride_sbrr_R2C_dirReg ; -- Begin function fft_rtc_fwd_len650_factors_10_5_13_wgs_195_tpt_65_dp_ip_CI_unitstride_sbrr_R2C_dirReg
	.globl	fft_rtc_fwd_len650_factors_10_5_13_wgs_195_tpt_65_dp_ip_CI_unitstride_sbrr_R2C_dirReg
	.p2align	8
	.type	fft_rtc_fwd_len650_factors_10_5_13_wgs_195_tpt_65_dp_ip_CI_unitstride_sbrr_R2C_dirReg,@function
fft_rtc_fwd_len650_factors_10_5_13_wgs_195_tpt_65_dp_ip_CI_unitstride_sbrr_R2C_dirReg: ; @fft_rtc_fwd_len650_factors_10_5_13_wgs_195_tpt_65_dp_ip_CI_unitstride_sbrr_R2C_dirReg
; %bb.0:
	s_load_dwordx2 s[2:3], s[4:5], 0x50
	s_load_dwordx4 s[8:11], s[4:5], 0x0
	s_load_dwordx2 s[12:13], s[4:5], 0x18
	v_mul_u32_u24_e32 v1, 0x3f1, v0
	v_lshrrev_b32_e32 v1, 16, v1
	v_mad_u64_u32 v[1:2], s[0:1], s6, 3, v[1:2]
	v_mov_b32_e32 v5, 0
	s_waitcnt lgkmcnt(0)
	v_cmp_lt_u64_e64 s[0:1], s[10:11], 2
	v_mov_b32_e32 v2, v5
	v_mov_b32_e32 v3, 0
	;; [unrolled: 1-line block ×3, first 2 shown]
	s_and_b64 vcc, exec, s[0:1]
	v_mov_b32_e32 v4, 0
	v_mov_b32_e32 v9, v1
	s_cbranch_vccnz .LBB0_8
; %bb.1:
	s_load_dwordx2 s[0:1], s[4:5], 0x10
	s_add_u32 s6, s12, 8
	s_addc_u32 s7, s13, 0
	v_mov_b32_e32 v3, 0
	v_mov_b32_e32 v8, v2
	s_waitcnt lgkmcnt(0)
	s_add_u32 s16, s0, 8
	s_mov_b64 s[14:15], 1
	v_mov_b32_e32 v4, 0
	s_addc_u32 s17, s1, 0
	v_mov_b32_e32 v7, v1
.LBB0_2:                                ; =>This Inner Loop Header: Depth=1
	s_load_dwordx2 s[18:19], s[16:17], 0x0
                                        ; implicit-def: $vgpr9_vgpr10
	s_waitcnt lgkmcnt(0)
	v_or_b32_e32 v6, s19, v8
	v_cmp_ne_u64_e32 vcc, 0, v[5:6]
	s_and_saveexec_b64 s[0:1], vcc
	s_xor_b64 s[20:21], exec, s[0:1]
	s_cbranch_execz .LBB0_4
; %bb.3:                                ;   in Loop: Header=BB0_2 Depth=1
	v_cvt_f32_u32_e32 v2, s18
	v_cvt_f32_u32_e32 v6, s19
	s_sub_u32 s0, 0, s18
	s_subb_u32 s1, 0, s19
	v_mac_f32_e32 v2, 0x4f800000, v6
	v_rcp_f32_e32 v2, v2
	v_mul_f32_e32 v2, 0x5f7ffffc, v2
	v_mul_f32_e32 v6, 0x2f800000, v2
	v_trunc_f32_e32 v6, v6
	v_mac_f32_e32 v2, 0xcf800000, v6
	v_cvt_u32_f32_e32 v6, v6
	v_cvt_u32_f32_e32 v2, v2
	v_mul_lo_u32 v9, s0, v6
	v_mul_hi_u32 v10, s0, v2
	v_mul_lo_u32 v12, s1, v2
	v_mul_lo_u32 v11, s0, v2
	v_add_u32_e32 v9, v10, v9
	v_add_u32_e32 v9, v9, v12
	v_mul_hi_u32 v10, v2, v11
	v_mul_lo_u32 v12, v2, v9
	v_mul_hi_u32 v14, v2, v9
	v_mul_hi_u32 v13, v6, v11
	v_mul_lo_u32 v11, v6, v11
	v_mul_hi_u32 v15, v6, v9
	v_add_co_u32_e32 v10, vcc, v10, v12
	v_addc_co_u32_e32 v12, vcc, 0, v14, vcc
	v_mul_lo_u32 v9, v6, v9
	v_add_co_u32_e32 v10, vcc, v10, v11
	v_addc_co_u32_e32 v10, vcc, v12, v13, vcc
	v_addc_co_u32_e32 v11, vcc, 0, v15, vcc
	v_add_co_u32_e32 v9, vcc, v10, v9
	v_addc_co_u32_e32 v10, vcc, 0, v11, vcc
	v_add_co_u32_e32 v2, vcc, v2, v9
	v_addc_co_u32_e32 v6, vcc, v6, v10, vcc
	v_mul_lo_u32 v9, s0, v6
	v_mul_hi_u32 v10, s0, v2
	v_mul_lo_u32 v11, s1, v2
	v_mul_lo_u32 v12, s0, v2
	v_add_u32_e32 v9, v10, v9
	v_add_u32_e32 v9, v9, v11
	v_mul_lo_u32 v13, v2, v9
	v_mul_hi_u32 v14, v2, v12
	v_mul_hi_u32 v15, v2, v9
	;; [unrolled: 1-line block ×3, first 2 shown]
	v_mul_lo_u32 v12, v6, v12
	v_mul_hi_u32 v10, v6, v9
	v_add_co_u32_e32 v13, vcc, v14, v13
	v_addc_co_u32_e32 v14, vcc, 0, v15, vcc
	v_mul_lo_u32 v9, v6, v9
	v_add_co_u32_e32 v12, vcc, v13, v12
	v_addc_co_u32_e32 v11, vcc, v14, v11, vcc
	v_addc_co_u32_e32 v10, vcc, 0, v10, vcc
	v_add_co_u32_e32 v9, vcc, v11, v9
	v_addc_co_u32_e32 v10, vcc, 0, v10, vcc
	v_add_co_u32_e32 v2, vcc, v2, v9
	v_addc_co_u32_e32 v6, vcc, v6, v10, vcc
	v_mad_u64_u32 v[9:10], s[0:1], v7, v6, 0
	v_mul_hi_u32 v11, v7, v2
	v_add_co_u32_e32 v13, vcc, v11, v9
	v_addc_co_u32_e32 v14, vcc, 0, v10, vcc
	v_mad_u64_u32 v[9:10], s[0:1], v8, v2, 0
	v_mad_u64_u32 v[11:12], s[0:1], v8, v6, 0
	v_add_co_u32_e32 v2, vcc, v13, v9
	v_addc_co_u32_e32 v2, vcc, v14, v10, vcc
	v_addc_co_u32_e32 v6, vcc, 0, v12, vcc
	v_add_co_u32_e32 v2, vcc, v2, v11
	v_addc_co_u32_e32 v6, vcc, 0, v6, vcc
	v_mul_lo_u32 v11, s19, v2
	v_mul_lo_u32 v12, s18, v6
	v_mad_u64_u32 v[9:10], s[0:1], s18, v2, 0
	v_add3_u32 v10, v10, v12, v11
	v_sub_u32_e32 v11, v8, v10
	v_mov_b32_e32 v12, s19
	v_sub_co_u32_e32 v9, vcc, v7, v9
	v_subb_co_u32_e64 v11, s[0:1], v11, v12, vcc
	v_subrev_co_u32_e64 v12, s[0:1], s18, v9
	v_subbrev_co_u32_e64 v11, s[0:1], 0, v11, s[0:1]
	v_cmp_le_u32_e64 s[0:1], s19, v11
	v_cndmask_b32_e64 v13, 0, -1, s[0:1]
	v_cmp_le_u32_e64 s[0:1], s18, v12
	v_cndmask_b32_e64 v12, 0, -1, s[0:1]
	v_cmp_eq_u32_e64 s[0:1], s19, v11
	v_cndmask_b32_e64 v11, v13, v12, s[0:1]
	v_add_co_u32_e64 v12, s[0:1], 2, v2
	v_addc_co_u32_e64 v13, s[0:1], 0, v6, s[0:1]
	v_add_co_u32_e64 v14, s[0:1], 1, v2
	v_addc_co_u32_e64 v15, s[0:1], 0, v6, s[0:1]
	v_subb_co_u32_e32 v10, vcc, v8, v10, vcc
	v_cmp_ne_u32_e64 s[0:1], 0, v11
	v_cmp_le_u32_e32 vcc, s19, v10
	v_cndmask_b32_e64 v11, v15, v13, s[0:1]
	v_cndmask_b32_e64 v13, 0, -1, vcc
	v_cmp_le_u32_e32 vcc, s18, v9
	v_cndmask_b32_e64 v9, 0, -1, vcc
	v_cmp_eq_u32_e32 vcc, s19, v10
	v_cndmask_b32_e32 v9, v13, v9, vcc
	v_cmp_ne_u32_e32 vcc, 0, v9
	v_cndmask_b32_e32 v10, v6, v11, vcc
	v_cndmask_b32_e64 v6, v14, v12, s[0:1]
	v_cndmask_b32_e32 v9, v2, v6, vcc
.LBB0_4:                                ;   in Loop: Header=BB0_2 Depth=1
	s_andn2_saveexec_b64 s[0:1], s[20:21]
	s_cbranch_execz .LBB0_6
; %bb.5:                                ;   in Loop: Header=BB0_2 Depth=1
	v_cvt_f32_u32_e32 v2, s18
	s_sub_i32 s20, 0, s18
	v_rcp_iflag_f32_e32 v2, v2
	v_mul_f32_e32 v2, 0x4f7ffffe, v2
	v_cvt_u32_f32_e32 v2, v2
	v_mul_lo_u32 v6, s20, v2
	v_mul_hi_u32 v6, v2, v6
	v_add_u32_e32 v2, v2, v6
	v_mul_hi_u32 v2, v7, v2
	v_mul_lo_u32 v6, v2, s18
	v_add_u32_e32 v9, 1, v2
	v_sub_u32_e32 v6, v7, v6
	v_subrev_u32_e32 v10, s18, v6
	v_cmp_le_u32_e32 vcc, s18, v6
	v_cndmask_b32_e32 v6, v6, v10, vcc
	v_cndmask_b32_e32 v2, v2, v9, vcc
	v_add_u32_e32 v9, 1, v2
	v_cmp_le_u32_e32 vcc, s18, v6
	v_cndmask_b32_e32 v9, v2, v9, vcc
	v_mov_b32_e32 v10, v5
.LBB0_6:                                ;   in Loop: Header=BB0_2 Depth=1
	s_or_b64 exec, exec, s[0:1]
	v_mul_lo_u32 v2, v10, s18
	v_mul_lo_u32 v6, v9, s19
	v_mad_u64_u32 v[11:12], s[0:1], v9, s18, 0
	s_load_dwordx2 s[0:1], s[6:7], 0x0
	s_add_u32 s14, s14, 1
	v_add3_u32 v2, v12, v6, v2
	v_sub_co_u32_e32 v6, vcc, v7, v11
	v_subb_co_u32_e32 v2, vcc, v8, v2, vcc
	s_waitcnt lgkmcnt(0)
	v_mul_lo_u32 v2, s0, v2
	v_mul_lo_u32 v7, s1, v6
	v_mad_u64_u32 v[3:4], s[0:1], s0, v6, v[3:4]
	s_addc_u32 s15, s15, 0
	s_add_u32 s6, s6, 8
	v_add3_u32 v4, v7, v4, v2
	v_mov_b32_e32 v6, s10
	v_mov_b32_e32 v7, s11
	s_addc_u32 s7, s7, 0
	v_cmp_ge_u64_e32 vcc, s[14:15], v[6:7]
	s_add_u32 s16, s16, 8
	s_addc_u32 s17, s17, 0
	s_cbranch_vccnz .LBB0_8
; %bb.7:                                ;   in Loop: Header=BB0_2 Depth=1
	v_mov_b32_e32 v7, v9
	v_mov_b32_e32 v8, v10
	s_branch .LBB0_2
.LBB0_8:
	s_lshl_b64 s[0:1], s[10:11], 3
	s_add_u32 s0, s12, s0
	s_addc_u32 s1, s13, s1
	s_load_dwordx2 s[0:1], s[0:1], 0x0
	s_mov_b32 s6, 0xaaaaaaab
	v_mul_hi_u32 v5, v1, s6
	s_load_dwordx2 s[4:5], s[4:5], 0x20
                                        ; implicit-def: $vgpr64
	s_waitcnt lgkmcnt(0)
	v_mul_lo_u32 v6, s0, v10
	v_mul_lo_u32 v7, s1, v9
	v_mad_u64_u32 v[2:3], s[0:1], s0, v9, v[3:4]
	s_mov_b32 s0, 0x3f03f04
	v_lshrrev_b32_e32 v4, 1, v5
	v_mul_hi_u32 v5, v0, s0
	v_lshl_add_u32 v4, v4, 1, v4
	v_sub_u32_e32 v1, v1, v4
	v_cmp_gt_u64_e64 s[0:1], s[4:5], v[9:10]
	v_cmp_le_u64_e32 vcc, s[4:5], v[9:10]
	v_mul_u32_u24_e32 v4, 0x41, v5
	v_add3_u32 v3, v7, v3, v6
	v_sub_u32_e32 v60, v0, v4
	s_and_saveexec_b64 s[4:5], vcc
	s_xor_b64 s[4:5], exec, s[4:5]
; %bb.9:
	v_add_u32_e32 v64, 0x41, v60
; %bb.10:
	s_or_saveexec_b64 s[4:5], s[4:5]
	v_mul_u32_u24_e32 v0, 0x28b, v1
	v_lshlrev_b64 v[62:63], 4, v[2:3]
	v_lshlrev_b32_e32 v40, 4, v0
	v_lshlrev_b32_e32 v126, 4, v60
	s_xor_b64 exec, exec, s[4:5]
	s_cbranch_execz .LBB0_12
; %bb.11:
	v_mov_b32_e32 v61, 0
	v_mov_b32_e32 v0, s3
	v_add_co_u32_e32 v2, vcc, s2, v62
	v_addc_co_u32_e32 v3, vcc, v0, v63, vcc
	v_lshlrev_b64 v[0:1], 4, v[60:61]
	s_movk_i32 s6, 0x1000
	v_add_co_u32_e32 v31, vcc, v2, v0
	v_addc_co_u32_e32 v32, vcc, v3, v1, vcc
	v_add_co_u32_e32 v33, vcc, s6, v31
	v_addc_co_u32_e32 v34, vcc, 0, v32, vcc
	;; [unrolled: 2-line block ×3, first 2 shown]
	global_load_dwordx4 v[0:3], v[31:32], off
	global_load_dwordx4 v[4:7], v[31:32], off offset:1040
	global_load_dwordx4 v[8:11], v[31:32], off offset:2080
	;; [unrolled: 1-line block ×6, first 2 shown]
	s_nop 0
	global_load_dwordx4 v[28:31], v[33:34], off offset:3184
	s_nop 0
	global_load_dwordx4 v[32:35], v[41:42], off offset:128
	global_load_dwordx4 v[36:39], v[41:42], off offset:1168
	v_add3_u32 v41, 0, v40, v126
	v_add_u32_e32 v64, 0x41, v60
	s_waitcnt vmcnt(9)
	ds_write_b128 v41, v[0:3]
	s_waitcnt vmcnt(8)
	ds_write_b128 v41, v[4:7] offset:1040
	s_waitcnt vmcnt(7)
	ds_write_b128 v41, v[8:11] offset:2080
	;; [unrolled: 2-line block ×9, first 2 shown]
.LBB0_12:
	s_or_b64 exec, exec, s[4:5]
	v_add_u32_e32 v61, 0, v40
	v_add_u32_e32 v125, v61, v126
	s_waitcnt lgkmcnt(0)
	s_barrier
	v_add3_u32 v127, 0, v126, v40
	ds_read_b128 v[0:3], v125
	ds_read_b128 v[4:7], v127 offset:1040
	ds_read_b128 v[8:11], v127 offset:2080
	;; [unrolled: 1-line block ×6, first 2 shown]
	s_waitcnt lgkmcnt(4)
	v_add_f64 v[41:42], v[0:1], v[8:9]
	ds_read_b128 v[28:31], v127 offset:7280
	ds_read_b128 v[32:35], v127 offset:8320
	;; [unrolled: 1-line block ×3, first 2 shown]
	s_waitcnt lgkmcnt(5)
	v_add_f64 v[43:44], v[12:13], v[16:17]
	v_add_f64 v[49:50], v[14:15], -v[18:19]
	s_mov_b32 s10, 0x134454ff
	s_waitcnt lgkmcnt(1)
	v_add_f64 v[55:56], v[8:9], v[32:33]
	v_add_f64 v[45:46], v[10:11], -v[34:35]
	v_add_f64 v[41:42], v[41:42], v[12:13]
	s_mov_b32 s11, 0x3fee6f0e
	s_mov_b32 s15, 0xbfee6f0e
	v_fma_f64 v[43:44], v[43:44], -0.5, v[0:1]
	s_mov_b32 s14, s10
	v_add_f64 v[51:52], v[8:9], -v[12:13]
	v_fma_f64 v[0:1], v[55:56], -0.5, v[0:1]
	v_add_f64 v[53:54], v[32:33], -v[16:17]
	v_add_f64 v[41:42], v[41:42], v[16:17]
	v_add_f64 v[57:58], v[2:3], v[10:11]
	v_add_f64 v[65:66], v[8:9], -v[32:33]
	v_fma_f64 v[47:48], v[45:46], s[10:11], v[43:44]
	v_fma_f64 v[43:44], v[45:46], s[14:15], v[43:44]
	v_add_f64 v[8:9], v[12:13], -v[8:9]
	v_fma_f64 v[55:56], v[49:50], s[14:15], v[0:1]
	v_fma_f64 v[0:1], v[49:50], s[10:11], v[0:1]
	v_add_f64 v[41:42], v[41:42], v[32:33]
	v_add_f64 v[32:33], v[16:17], -v[32:33]
	s_mov_b32 s6, 0x4755a5e
	s_mov_b32 s7, 0x3fe2cf23
	;; [unrolled: 1-line block ×4, first 2 shown]
	v_fma_f64 v[47:48], v[49:50], s[6:7], v[47:48]
	v_add_f64 v[51:52], v[51:52], v[53:54]
	v_add_f64 v[53:54], v[14:15], v[18:19]
	v_fma_f64 v[43:44], v[49:50], s[12:13], v[43:44]
	v_add_f64 v[49:50], v[57:58], v[14:15]
	v_add_f64 v[8:9], v[8:9], v[32:33]
	;; [unrolled: 1-line block ×3, first 2 shown]
	v_fma_f64 v[0:1], v[45:46], s[12:13], v[0:1]
	s_mov_b32 s4, 0x372fe950
	s_mov_b32 s5, 0x3fd3c6ef
	v_fma_f64 v[53:54], v[53:54], -0.5, v[2:3]
	v_fma_f64 v[55:56], v[45:46], s[6:7], v[55:56]
	v_add_f64 v[45:46], v[49:50], v[18:19]
	v_add_f64 v[49:50], v[24:25], v[28:29]
	v_fma_f64 v[2:3], v[32:33], -0.5, v[2:3]
	v_fma_f64 v[32:33], v[8:9], s[4:5], v[0:1]
	v_add_f64 v[0:1], v[4:5], v[20:21]
	v_add_f64 v[12:13], v[12:13], -v[16:17]
	v_fma_f64 v[57:58], v[65:66], s[14:15], v[53:54]
	v_add_f64 v[16:17], v[10:11], -v[14:15]
	v_add_f64 v[67:68], v[34:35], -v[18:19]
	v_fma_f64 v[55:56], v[8:9], s[4:5], v[55:56]
	v_fma_f64 v[8:9], v[49:50], -0.5, v[4:5]
	s_waitcnt lgkmcnt(0)
	v_add_f64 v[49:50], v[22:23], -v[38:39]
	v_fma_f64 v[53:54], v[65:66], s[10:11], v[53:54]
	v_add_f64 v[0:1], v[0:1], v[24:25]
	v_fma_f64 v[47:48], v[51:52], s[4:5], v[47:48]
	v_fma_f64 v[43:44], v[51:52], s[4:5], v[43:44]
	;; [unrolled: 1-line block ×3, first 2 shown]
	v_add_f64 v[16:17], v[16:17], v[67:68]
	v_add_f64 v[45:46], v[45:46], v[34:35]
	v_fma_f64 v[57:58], v[12:13], s[10:11], v[2:3]
	v_add_f64 v[10:11], v[14:15], -v[10:11]
	v_add_f64 v[14:15], v[18:19], -v[34:35]
	v_fma_f64 v[2:3], v[12:13], s[14:15], v[2:3]
	v_fma_f64 v[18:19], v[49:50], s[10:11], v[8:9]
	v_add_f64 v[34:35], v[26:27], -v[30:31]
	v_add_f64 v[67:68], v[20:21], -v[24:25]
	;; [unrolled: 1-line block ×3, first 2 shown]
	v_fma_f64 v[12:13], v[12:13], s[6:7], v[53:54]
	v_add_f64 v[0:1], v[0:1], v[28:29]
	v_add_f64 v[53:54], v[20:21], v[36:37]
	v_fma_f64 v[57:58], v[65:66], s[12:13], v[57:58]
	v_add_f64 v[10:11], v[10:11], v[14:15]
	v_fma_f64 v[2:3], v[65:66], s[6:7], v[2:3]
	v_fma_f64 v[14:15], v[34:35], s[6:7], v[18:19]
	v_add_f64 v[18:19], v[67:68], v[69:70]
	v_fma_f64 v[65:66], v[16:17], s[4:5], v[12:13]
	v_add_f64 v[12:13], v[26:27], v[30:31]
	v_add_f64 v[67:68], v[0:1], v[36:37]
	;; [unrolled: 1-line block ×3, first 2 shown]
	v_fma_f64 v[4:5], v[53:54], -0.5, v[4:5]
	v_fma_f64 v[51:52], v[16:17], s[4:5], v[51:52]
	v_fma_f64 v[8:9], v[49:50], s[14:15], v[8:9]
	;; [unrolled: 1-line block ×5, first 2 shown]
	v_fma_f64 v[12:13], v[12:13], -0.5, v[6:7]
	v_add_f64 v[14:15], v[20:21], -v[36:37]
	v_add_f64 v[16:17], v[24:25], -v[20:21]
	;; [unrolled: 1-line block ×4, first 2 shown]
	v_fma_f64 v[0:1], v[0:1], -0.5, v[6:7]
	v_fma_f64 v[10:11], v[34:35], s[14:15], v[4:5]
	v_fma_f64 v[4:5], v[34:35], s[10:11], v[4:5]
	v_add_f64 v[6:7], v[6:7], v[22:23]
	v_fma_f64 v[8:9], v[34:35], s[12:13], v[8:9]
	v_fma_f64 v[28:29], v[14:15], s[14:15], v[12:13]
	v_add_f64 v[34:35], v[22:23], -v[26:27]
	v_add_f64 v[36:37], v[38:39], -v[30:31]
	v_add_f64 v[16:17], v[16:17], v[20:21]
	v_fma_f64 v[20:21], v[24:25], s[10:11], v[0:1]
	v_add_f64 v[22:23], v[26:27], -v[22:23]
	v_add_f64 v[69:70], v[30:31], -v[38:39]
	v_fma_f64 v[10:11], v[49:50], s[6:7], v[10:11]
	v_fma_f64 v[4:5], v[49:50], s[12:13], v[4:5]
	v_add_f64 v[6:7], v[6:7], v[26:27]
	v_fma_f64 v[12:13], v[14:15], s[10:11], v[12:13]
	v_fma_f64 v[0:1], v[24:25], s[14:15], v[0:1]
	;; [unrolled: 1-line block ×3, first 2 shown]
	v_add_f64 v[28:29], v[34:35], v[36:37]
	v_fma_f64 v[20:21], v[14:15], s[12:13], v[20:21]
	v_add_f64 v[22:23], v[22:23], v[69:70]
	v_fma_f64 v[10:11], v[16:17], s[4:5], v[10:11]
	v_fma_f64 v[16:17], v[16:17], s[4:5], v[4:5]
	v_add_f64 v[4:5], v[6:7], v[30:31]
	v_fma_f64 v[6:7], v[24:25], s[6:7], v[12:13]
	v_fma_f64 v[0:1], v[14:15], s[6:7], v[0:1]
	s_mov_b32 s16, 0x9b97f4a8
	s_mov_b32 s17, 0x3fe9e377
	v_fma_f64 v[8:9], v[18:19], s[4:5], v[8:9]
	v_fma_f64 v[12:13], v[28:29], s[4:5], v[26:27]
	;; [unrolled: 1-line block ×3, first 2 shown]
	v_mul_f64 v[18:19], v[2:3], s[16:17]
	v_add_f64 v[26:27], v[4:5], v[38:39]
	v_fma_f64 v[4:5], v[28:29], s[4:5], v[6:7]
	v_fma_f64 v[6:7], v[22:23], s[4:5], v[0:1]
	v_mul_f64 v[2:3], v[2:3], s[12:13]
	v_mul_f64 v[22:23], v[16:17], s[4:5]
	;; [unrolled: 1-line block ×4, first 2 shown]
	v_fma_f64 v[28:29], v[12:13], s[6:7], v[18:19]
	v_mul_f64 v[18:19], v[10:11], s[14:15]
	v_mul_f64 v[34:35], v[4:5], s[16:17]
	;; [unrolled: 1-line block ×3, first 2 shown]
	v_fma_f64 v[49:50], v[12:13], s[16:17], v[2:3]
	v_fma_f64 v[22:23], v[6:7], s[10:11], -v[22:23]
	v_fma_f64 v[38:39], v[4:5], s[6:7], -v[24:25]
	v_fma_f64 v[36:37], v[10:11], s[4:5], v[20:21]
	v_add_f64 v[0:1], v[41:42], v[67:68]
	v_fma_f64 v[69:70], v[14:15], s[4:5], v[18:19]
	v_fma_f64 v[73:74], v[8:9], s[12:13], -v[34:35]
	v_fma_f64 v[71:72], v[16:17], s[14:15], -v[30:31]
	v_add_f64 v[2:3], v[45:46], v[26:27]
	v_add_f64 v[4:5], v[47:48], v[28:29]
	;; [unrolled: 1-line block ×9, first 2 shown]
	v_add_f64 v[20:21], v[41:42], -v[67:68]
	v_add_f64 v[32:33], v[32:33], -v[22:23]
	;; [unrolled: 1-line block ×5, first 2 shown]
	s_movk_i32 s16, 0x90
	v_add_f64 v[28:29], v[55:56], -v[36:37]
	v_add_f64 v[30:31], v[53:54], -v[69:70]
	v_mad_u32_u24 v41, v60, s16, v127
	s_movk_i32 s16, 0xcd
	v_add_f64 v[36:37], v[43:44], -v[38:39]
	v_add_f64 v[34:35], v[57:58], -v[71:72]
	;; [unrolled: 1-line block ×3, first 2 shown]
	s_barrier
	ds_write_b128 v41, v[0:3]
	ds_write_b128 v41, v[4:7] offset:16
	ds_write_b128 v41, v[8:11] offset:32
	;; [unrolled: 1-line block ×9, first 2 shown]
	v_mul_lo_u16_sdwa v0, v60, s16 dst_sel:DWORD dst_unused:UNUSED_PAD src0_sel:BYTE_0 src1_sel:DWORD
	v_lshrrev_b16_e32 v41, 11, v0
	v_mul_lo_u16_e32 v0, 10, v41
	v_sub_u16_e32 v42, v60, v0
	v_mov_b32_e32 v16, 6
	v_lshlrev_b32_sdwa v17, v16, v42 dst_sel:DWORD dst_unused:UNUSED_PAD src0_sel:DWORD src1_sel:BYTE_0
	s_waitcnt lgkmcnt(0)
	s_barrier
	global_load_dwordx4 v[0:3], v17, s[8:9]
	global_load_dwordx4 v[4:7], v17, s[8:9] offset:16
	global_load_dwordx4 v[8:11], v17, s[8:9] offset:32
	;; [unrolled: 1-line block ×3, first 2 shown]
	v_mul_lo_u16_sdwa v17, v64, s16 dst_sel:DWORD dst_unused:UNUSED_PAD src0_sel:BYTE_0 src1_sel:DWORD
	v_lshrrev_b16_e32 v44, 11, v17
	v_mul_lo_u16_e32 v17, 10, v44
	v_sub_u16_e32 v43, v64, v17
	v_lshlrev_b32_sdwa v32, v16, v43 dst_sel:DWORD dst_unused:UNUSED_PAD src0_sel:DWORD src1_sel:BYTE_0
	global_load_dwordx4 v[16:19], v32, s[8:9]
	global_load_dwordx4 v[20:23], v32, s[8:9] offset:16
	global_load_dwordx4 v[24:27], v32, s[8:9] offset:32
	global_load_dwordx4 v[28:31], v32, s[8:9] offset:48
	ds_read_b128 v[32:35], v125
	ds_read_b128 v[36:39], v127 offset:2080
	ds_read_b128 v[45:48], v127 offset:4160
	;; [unrolled: 1-line block ×7, first 2 shown]
	v_lshl_add_u32 v128, v64, 4, v61
	ds_read_b128 v[77:80], v128
	ds_read_b128 v[81:84], v127 offset:9360
	s_waitcnt vmcnt(0) lgkmcnt(0)
	s_barrier
	v_cmp_gt_u32_e32 vcc, 50, v60
	v_mul_f64 v[57:58], v[38:39], v[2:3]
	v_mul_f64 v[2:3], v[36:37], v[2:3]
	v_mul_f64 v[85:86], v[47:48], v[6:7]
	v_mul_f64 v[6:7], v[45:46], v[6:7]
	v_mul_f64 v[87:88], v[55:56], v[10:11]
	v_mul_f64 v[10:11], v[53:54], v[10:11]
	v_fma_f64 v[36:37], v[36:37], v[0:1], -v[57:58]
	v_fma_f64 v[38:39], v[38:39], v[0:1], v[2:3]
	v_fma_f64 v[2:3], v[45:46], v[4:5], -v[85:86]
	v_mul_f64 v[0:1], v[71:72], v[14:15]
	v_fma_f64 v[6:7], v[47:48], v[4:5], v[6:7]
	v_mul_f64 v[4:5], v[69:70], v[14:15]
	v_fma_f64 v[14:15], v[53:54], v[8:9], -v[87:88]
	v_mul_f64 v[45:46], v[51:52], v[18:19]
	v_fma_f64 v[10:11], v[55:56], v[8:9], v[10:11]
	v_mul_f64 v[8:9], v[49:50], v[18:19]
	v_mul_f64 v[18:19], v[67:68], v[22:23]
	v_fma_f64 v[47:48], v[69:70], v[12:13], -v[0:1]
	v_add_f64 v[0:1], v[32:33], v[36:37]
	v_fma_f64 v[53:54], v[71:72], v[12:13], v[4:5]
	v_mul_f64 v[12:13], v[65:66], v[22:23]
	v_add_f64 v[4:5], v[2:3], v[14:15]
	v_fma_f64 v[45:46], v[49:50], v[16:17], -v[45:46]
	v_fma_f64 v[22:23], v[51:52], v[16:17], v[8:9]
	v_fma_f64 v[49:50], v[65:66], v[20:21], -v[18:19]
	v_mul_f64 v[8:9], v[75:76], v[26:27]
	v_mul_f64 v[16:17], v[73:74], v[26:27]
	v_add_f64 v[18:19], v[38:39], -v[53:54]
	v_fma_f64 v[26:27], v[67:68], v[20:21], v[12:13]
	v_mul_f64 v[12:13], v[83:84], v[30:31]
	v_mul_f64 v[20:21], v[81:82], v[30:31]
	v_add_f64 v[30:31], v[36:37], v[47:48]
	v_fma_f64 v[4:5], v[4:5], -0.5, v[32:33]
	v_fma_f64 v[51:52], v[73:74], v[24:25], -v[8:9]
	v_fma_f64 v[55:56], v[75:76], v[24:25], v[16:17]
	v_add_f64 v[16:17], v[6:7], -v[10:11]
	v_add_f64 v[24:25], v[47:48], -v[14:15]
	v_fma_f64 v[57:58], v[81:82], v[28:29], -v[12:13]
	v_fma_f64 v[65:66], v[83:84], v[28:29], v[20:21]
	v_fma_f64 v[12:13], v[30:31], -0.5, v[32:33]
	v_fma_f64 v[8:9], v[18:19], s[10:11], v[4:5]
	v_add_f64 v[20:21], v[36:37], -v[2:3]
	v_fma_f64 v[4:5], v[18:19], s[14:15], v[4:5]
	v_add_f64 v[28:29], v[34:35], v[38:39]
	v_add_f64 v[30:31], v[6:7], v[10:11]
	v_add_f64 v[67:68], v[2:3], -v[36:37]
	v_add_f64 v[69:70], v[14:15], -v[47:48]
	v_fma_f64 v[32:33], v[16:17], s[14:15], v[12:13]
	v_add_f64 v[0:1], v[0:1], v[2:3]
	v_fma_f64 v[8:9], v[16:17], s[6:7], v[8:9]
	v_add_f64 v[20:21], v[20:21], v[24:25]
	v_fma_f64 v[24:25], v[16:17], s[12:13], v[4:5]
	v_fma_f64 v[12:13], v[16:17], s[10:11], v[12:13]
	v_add_f64 v[16:17], v[28:29], v[6:7]
	v_fma_f64 v[28:29], v[30:31], -0.5, v[34:35]
	v_add_f64 v[30:31], v[36:37], -v[47:48]
	v_fma_f64 v[32:33], v[18:19], s[6:7], v[32:33]
	v_add_f64 v[36:37], v[67:68], v[69:70]
	v_add_f64 v[0:1], v[0:1], v[14:15]
	v_fma_f64 v[4:5], v[20:21], s[4:5], v[8:9]
	v_fma_f64 v[8:9], v[20:21], s[4:5], v[24:25]
	;; [unrolled: 1-line block ×3, first 2 shown]
	v_add_f64 v[24:25], v[38:39], v[53:54]
	v_add_f64 v[20:21], v[16:17], v[10:11]
	v_add_f64 v[14:15], v[2:3], -v[14:15]
	v_fma_f64 v[12:13], v[36:37], s[4:5], v[32:33]
	v_add_f64 v[32:33], v[49:50], v[51:52]
	v_add_f64 v[0:1], v[0:1], v[47:48]
	v_fma_f64 v[47:48], v[30:31], s[14:15], v[28:29]
	v_add_f64 v[67:68], v[38:39], -v[6:7]
	v_add_f64 v[69:70], v[53:54], -v[10:11]
	v_fma_f64 v[16:17], v[36:37], s[4:5], v[18:19]
	v_fma_f64 v[18:19], v[24:25], -0.5, v[34:35]
	v_add_f64 v[34:35], v[22:23], -v[65:66]
	v_fma_f64 v[32:33], v[32:33], -0.5, v[77:78]
	v_fma_f64 v[28:29], v[30:31], s[10:11], v[28:29]
	v_add_f64 v[2:3], v[20:21], v[53:54]
	v_fma_f64 v[20:21], v[14:15], s[12:13], v[47:48]
	v_add_f64 v[24:25], v[77:78], v[45:46]
	v_add_f64 v[36:37], v[67:68], v[69:70]
	v_fma_f64 v[47:48], v[14:15], s[10:11], v[18:19]
	v_add_f64 v[6:7], v[6:7], -v[38:39]
	v_add_f64 v[10:11], v[10:11], -v[53:54]
	v_fma_f64 v[18:19], v[14:15], s[14:15], v[18:19]
	v_fma_f64 v[38:39], v[34:35], s[10:11], v[32:33]
	v_add_f64 v[53:54], v[26:27], -v[55:56]
	v_add_f64 v[67:68], v[45:46], -v[49:50]
	;; [unrolled: 1-line block ×3, first 2 shown]
	v_fma_f64 v[14:15], v[14:15], s[6:7], v[28:29]
	v_add_f64 v[24:25], v[24:25], v[49:50]
	v_add_f64 v[28:29], v[45:46], v[57:58]
	v_fma_f64 v[47:48], v[30:31], s[12:13], v[47:48]
	v_add_f64 v[71:72], v[6:7], v[10:11]
	v_fma_f64 v[18:19], v[30:31], s[6:7], v[18:19]
	v_fma_f64 v[30:31], v[53:54], s[6:7], v[38:39]
	v_add_f64 v[38:39], v[67:68], v[69:70]
	v_fma_f64 v[6:7], v[36:37], s[4:5], v[20:21]
	v_fma_f64 v[10:11], v[36:37], s[4:5], v[14:15]
	v_add_f64 v[36:37], v[26:27], v[55:56]
	v_add_f64 v[67:68], v[22:23], v[65:66]
	;; [unrolled: 1-line block ×3, first 2 shown]
	v_fma_f64 v[28:29], v[28:29], -0.5, v[77:78]
	v_fma_f64 v[14:15], v[71:72], s[4:5], v[47:48]
	v_fma_f64 v[18:19], v[71:72], s[4:5], v[18:19]
	;; [unrolled: 1-line block ×4, first 2 shown]
	v_add_f64 v[47:48], v[49:50], -v[45:46]
	v_add_f64 v[69:70], v[51:52], -v[57:58]
	v_add_f64 v[71:72], v[79:80], v[22:23]
	v_fma_f64 v[36:37], v[36:37], -0.5, v[79:80]
	v_add_f64 v[45:46], v[45:46], -v[57:58]
	v_add_f64 v[49:50], v[49:50], -v[51:52]
	v_fma_f64 v[51:52], v[67:68], -0.5, v[79:80]
	v_add_f64 v[24:25], v[24:25], v[57:58]
	v_fma_f64 v[32:33], v[53:54], s[14:15], v[28:29]
	v_fma_f64 v[30:31], v[53:54], s[12:13], v[30:31]
	v_add_f64 v[47:48], v[47:48], v[69:70]
	v_fma_f64 v[28:29], v[53:54], s[10:11], v[28:29]
	v_add_f64 v[53:54], v[71:72], v[26:27]
	v_fma_f64 v[57:58], v[45:46], s[14:15], v[36:37]
	v_add_f64 v[67:68], v[22:23], -v[26:27]
	v_add_f64 v[69:70], v[65:66], -v[55:56]
	v_fma_f64 v[36:37], v[45:46], s[10:11], v[36:37]
	v_fma_f64 v[71:72], v[49:50], s[10:11], v[51:52]
	v_add_f64 v[22:23], v[26:27], -v[22:23]
	v_add_f64 v[26:27], v[55:56], -v[65:66]
	v_fma_f64 v[51:52], v[49:50], s[14:15], v[51:52]
	v_fma_f64 v[32:33], v[34:35], s[6:7], v[32:33]
	;; [unrolled: 1-line block ×3, first 2 shown]
	v_add_f64 v[53:54], v[53:54], v[55:56]
	v_fma_f64 v[55:56], v[49:50], s[12:13], v[57:58]
	v_add_f64 v[57:58], v[67:68], v[69:70]
	v_fma_f64 v[49:50], v[49:50], s[6:7], v[36:37]
	v_fma_f64 v[67:68], v[45:46], s[12:13], v[71:72]
	v_add_f64 v[69:70], v[22:23], v[26:27]
	v_fma_f64 v[45:46], v[45:46], s[6:7], v[51:52]
	v_fma_f64 v[36:37], v[38:39], s[4:5], v[30:31]
	;; [unrolled: 1-line block ×4, first 2 shown]
	v_add_f64 v[26:27], v[53:54], v[65:66]
	v_fma_f64 v[22:23], v[57:58], s[4:5], v[55:56]
	v_fma_f64 v[38:39], v[57:58], s[4:5], v[49:50]
	;; [unrolled: 1-line block ×4, first 2 shown]
	s_movk_i32 s4, 0x320
	v_mov_b32_e32 v45, 4
	v_mad_u32_u24 v41, v41, s4, 0
	v_lshlrev_b32_sdwa v42, v45, v42 dst_sel:DWORD dst_unused:UNUSED_PAD src0_sel:DWORD src1_sel:BYTE_0
	v_add3_u32 v41, v41, v42, v40
	ds_write_b128 v41, v[0:3]
	ds_write_b128 v41, v[4:7] offset:160
	ds_write_b128 v41, v[12:15] offset:320
	;; [unrolled: 1-line block ×4, first 2 shown]
	v_mad_u32_u24 v41, v44, s4, 0
	v_lshlrev_b32_sdwa v42, v45, v43 dst_sel:DWORD dst_unused:UNUSED_PAD src0_sel:DWORD src1_sel:BYTE_0
	v_add3_u32 v40, v41, v42, v40
	ds_write_b128 v40, v[24:27]
	ds_write_b128 v40, v[20:23] offset:160
	ds_write_b128 v40, v[28:31] offset:320
	;; [unrolled: 1-line block ×4, first 2 shown]
	s_waitcnt lgkmcnt(0)
	s_barrier
	s_waitcnt lgkmcnt(0)
                                        ; implicit-def: $vgpr50_vgpr51
                                        ; implicit-def: $vgpr46_vgpr47
                                        ; implicit-def: $vgpr42_vgpr43
	s_and_saveexec_b64 s[4:5], vcc
	s_cbranch_execz .LBB0_14
; %bb.13:
	ds_read_b128 v[0:3], v125
	ds_read_b128 v[4:7], v127 offset:800
	ds_read_b128 v[12:15], v127 offset:1600
	;; [unrolled: 1-line block ×12, first 2 shown]
.LBB0_14:
	s_or_b64 exec, exec, s[4:5]
	s_waitcnt lgkmcnt(0)
	s_barrier
	s_and_saveexec_b64 s[4:5], vcc
	s_cbranch_execz .LBB0_16
; %bb.15:
	v_subrev_u32_e32 v52, 50, v60
	v_cndmask_b32_e32 v52, v52, v60, vcc
	v_mul_i32_i24_e32 v52, 12, v52
	v_mov_b32_e32 v53, 0
	v_lshlrev_b64 v[52:53], 4, v[52:53]
	v_mov_b32_e32 v54, s9
	v_add_co_u32_e32 v65, vcc, s8, v52
	v_addc_co_u32_e32 v66, vcc, v54, v53, vcc
	global_load_dwordx4 v[56:59], v[65:66], off offset:720
	global_load_dwordx4 v[52:55], v[65:66], off offset:736
	;; [unrolled: 1-line block ×12, first 2 shown]
	s_mov_b32 s10, 0x93053d00
	s_mov_b32 s14, 0x4bc48dbf
	;; [unrolled: 1-line block ×36, first 2 shown]
	s_waitcnt vmcnt(11)
	v_mul_f64 v[65:66], v[20:21], v[58:59]
	v_mul_f64 v[129:130], v[22:23], v[58:59]
	s_waitcnt vmcnt(9)
	v_mul_f64 v[73:74], v[26:27], v[71:72]
	v_mul_f64 v[58:59], v[28:29], v[54:55]
	;; [unrolled: 1-line block ×4, first 2 shown]
	s_waitcnt vmcnt(8)
	v_mul_f64 v[121:122], v[32:33], v[77:78]
	s_waitcnt vmcnt(4)
	v_mul_f64 v[115:116], v[4:5], v[97:98]
	;; [unrolled: 2-line block ×3, first 2 shown]
	v_mul_f64 v[103:104], v[36:37], v[89:90]
	v_mul_f64 v[105:106], v[12:13], v[93:94]
	;; [unrolled: 1-line block ×3, first 2 shown]
	s_waitcnt vmcnt(2)
	v_mul_f64 v[133:134], v[44:45], v[109:110]
	v_mul_f64 v[101:102], v[50:51], v[101:102]
	v_fma_f64 v[73:74], v[24:25], v[69:70], -v[73:74]
	v_fma_f64 v[115:116], v[6:7], v[95:96], v[115:116]
	v_fma_f64 v[24:25], v[50:51], v[99:100], v[123:124]
	v_mul_f64 v[77:78], v[34:35], v[77:78]
	v_mul_f64 v[89:90], v[38:39], v[89:90]
	;; [unrolled: 1-line block ×4, first 2 shown]
	s_waitcnt vmcnt(1)
	v_mul_f64 v[135:136], v[16:17], v[113:114]
	v_mul_f64 v[137:138], v[18:19], v[113:114]
	s_waitcnt vmcnt(0)
	v_mul_f64 v[139:140], v[40:41], v[119:120]
	v_mul_f64 v[119:120], v[42:43], v[119:120]
	v_fma_f64 v[67:68], v[22:23], v[56:57], v[65:66]
	v_fma_f64 v[65:66], v[30:31], v[52:53], v[58:59]
	v_fma_f64 v[71:72], v[26:27], v[69:70], v[54:55]
	v_fma_f64 v[54:55], v[38:39], v[87:88], v[103:104]
	v_fma_f64 v[103:104], v[14:15], v[91:92], v[105:106]
	v_fma_f64 v[113:114], v[4:5], v[95:96], -v[97:98]
	v_fma_f64 v[30:31], v[46:47], v[107:108], v[133:134]
	v_fma_f64 v[26:27], v[48:49], v[99:100], -v[101:102]
	v_fma_f64 v[34:35], v[34:35], v[75:76], v[121:122]
	v_add_f64 v[123:124], v[115:116], v[24:25]
	v_add_f64 v[121:122], v[115:116], -v[24:25]
	v_mul_f64 v[83:84], v[8:9], v[81:82]
	v_mul_f64 v[81:82], v[10:11], v[81:82]
	v_fma_f64 v[58:59], v[36:37], v[87:88], -v[89:90]
	v_fma_f64 v[105:106], v[12:13], v[91:92], -v[93:94]
	;; [unrolled: 1-line block ×3, first 2 shown]
	v_fma_f64 v[95:96], v[18:19], v[111:112], v[135:136]
	v_fma_f64 v[97:98], v[16:17], v[111:112], -v[137:138]
	v_fma_f64 v[38:39], v[42:43], v[117:118], v[139:140]
	v_fma_f64 v[40:41], v[40:41], v[117:118], -v[119:120]
	v_add_f64 v[111:112], v[103:104], v[30:31]
	v_add_f64 v[119:120], v[113:114], -v[26:27]
	v_add_f64 v[117:118], v[113:114], v[26:27]
	v_add_f64 v[89:90], v[103:104], -v[30:31]
	v_mul_f64 v[4:5], v[123:124], s[10:11]
	v_mul_f64 v[6:7], v[121:122], s[16:17]
	v_fma_f64 v[83:84], v[10:11], v[79:80], v[83:84]
	v_fma_f64 v[85:86], v[8:9], v[79:80], -v[81:82]
	v_add_f64 v[79:80], v[105:106], -v[36:37]
	v_add_f64 v[48:49], v[105:106], v[36:37]
	v_add_f64 v[107:108], v[95:96], v[38:39]
	v_add_f64 v[87:88], v[95:96], -v[38:39]
	v_mul_f64 v[8:9], v[111:112], s[6:7]
	v_mul_f64 v[10:11], v[89:90], s[20:21]
	v_fma_f64 v[12:13], v[119:120], s[14:15], v[4:5]
	v_fma_f64 v[14:15], v[117:118], s[10:11], v[6:7]
	v_fma_f64 v[32:33], v[32:33], v[75:76], -v[77:78]
	v_add_f64 v[75:76], v[97:98], -v[40:41]
	v_add_f64 v[46:47], v[97:98], v[40:41]
	v_add_f64 v[101:102], v[83:84], v[54:55]
	v_mul_f64 v[16:17], v[107:108], s[18:19]
	v_mul_f64 v[18:19], v[87:88], s[22:23]
	v_fma_f64 v[22:23], v[79:80], s[12:13], v[8:9]
	v_fma_f64 v[44:45], v[48:49], s[6:7], v[10:11]
	v_add_f64 v[12:13], v[2:3], v[12:13]
	v_add_f64 v[14:15], v[0:1], v[14:15]
	v_add_f64 v[50:51], v[85:86], -v[58:59]
	v_add_f64 v[81:82], v[83:84], -v[54:55]
	v_add_f64 v[91:92], v[71:72], v[34:35]
	v_mul_f64 v[133:134], v[101:102], s[26:27]
	v_fma_f64 v[93:94], v[75:76], s[24:25], v[16:17]
	v_fma_f64 v[99:100], v[46:47], s[18:19], v[18:19]
	v_add_f64 v[12:13], v[22:23], v[12:13]
	v_add_f64 v[14:15], v[44:45], v[14:15]
	;; [unrolled: 1-line block ×3, first 2 shown]
	v_add_f64 v[69:70], v[71:72], -v[34:35]
	v_mul_f64 v[135:136], v[81:82], s[30:31]
	v_add_f64 v[77:78], v[73:74], -v[32:33]
	v_mul_f64 v[22:23], v[91:92], s[34:35]
	v_fma_f64 v[109:110], v[50:51], s[28:29], v[133:134]
	v_add_f64 v[12:13], v[93:94], v[12:13]
	v_add_f64 v[14:15], v[99:100], v[14:15]
	v_fma_f64 v[99:100], v[20:21], v[56:57], -v[129:130]
	v_fma_f64 v[56:57], v[28:29], v[52:53], -v[131:132]
	v_add_f64 v[28:29], v[67:68], v[65:66]
	v_add_f64 v[44:45], v[73:74], v[32:33]
	v_mul_f64 v[137:138], v[69:70], s[36:37]
	v_fma_f64 v[139:140], v[42:43], s[26:27], v[135:136]
	v_fma_f64 v[20:21], v[77:78], s[38:39], v[22:23]
	;; [unrolled: 1-line block ×3, first 2 shown]
	v_add_f64 v[12:13], v[109:110], v[12:13]
	v_add_f64 v[52:53], v[99:100], -v[56:57]
	v_mul_f64 v[129:130], v[28:29], s[40:41]
	v_fma_f64 v[8:9], v[79:80], s[20:21], v[8:9]
	v_fma_f64 v[93:94], v[44:45], s[34:35], v[137:138]
	v_add_f64 v[14:15], v[139:140], v[14:15]
	v_fma_f64 v[109:110], v[117:118], s[10:11], -v[6:7]
	v_add_f64 v[4:5], v[2:3], v[4:5]
	v_add_f64 v[12:13], v[20:21], v[12:13]
	v_mul_f64 v[131:132], v[123:124], s[18:19]
	v_fma_f64 v[20:21], v[52:53], s[42:43], v[129:130]
	v_fma_f64 v[10:11], v[48:49], s[6:7], -v[10:11]
	v_mul_f64 v[139:140], v[111:112], s[40:41]
	v_add_f64 v[14:15], v[93:94], v[14:15]
	v_add_f64 v[93:94], v[67:68], -v[65:66]
	v_add_f64 v[4:5], v[8:9], v[4:5]
	v_fma_f64 v[8:9], v[75:76], s[22:23], v[16:17]
	v_mul_f64 v[143:144], v[107:108], s[26:27]
	v_add_f64 v[6:7], v[20:21], v[12:13]
	v_add_f64 v[12:13], v[0:1], v[109:110]
	v_fma_f64 v[20:21], v[119:120], s[24:25], v[131:132]
	v_add_f64 v[109:110], v[99:100], v[56:57]
	v_mul_f64 v[16:17], v[93:94], s[44:45]
	v_fma_f64 v[141:142], v[79:80], s[42:43], v[139:140]
	v_add_f64 v[4:5], v[8:9], v[4:5]
	v_fma_f64 v[8:9], v[50:51], s[30:31], v[133:134]
	v_mul_f64 v[133:134], v[121:122], s[22:23]
	v_add_f64 v[10:11], v[10:11], v[12:13]
	v_fma_f64 v[12:13], v[46:47], s[18:19], -v[18:19]
	v_add_f64 v[20:21], v[2:3], v[20:21]
	v_fma_f64 v[18:19], v[109:110], s[40:41], v[16:17]
	v_mul_f64 v[145:146], v[89:90], s[44:45]
	v_fma_f64 v[22:23], v[77:78], s[36:37], v[22:23]
	v_add_f64 v[8:9], v[8:9], v[4:5]
	v_fma_f64 v[4:5], v[117:118], s[18:19], v[133:134]
	v_mul_f64 v[151:152], v[87:88], s[28:29]
	v_add_f64 v[10:11], v[12:13], v[10:11]
	v_fma_f64 v[12:13], v[42:43], s[26:27], -v[135:136]
	v_add_f64 v[20:21], v[141:142], v[20:21]
	v_fma_f64 v[135:136], v[75:76], s[30:31], v[143:144]
	v_mul_f64 v[141:142], v[101:102], s[10:11]
	v_fma_f64 v[149:150], v[48:49], s[40:41], v[145:146]
	v_add_f64 v[147:148], v[0:1], v[4:5]
	v_add_f64 v[4:5], v[18:19], v[14:15]
	;; [unrolled: 1-line block ×4, first 2 shown]
	v_fma_f64 v[12:13], v[44:45], s[34:35], -v[137:138]
	v_add_f64 v[14:15], v[135:136], v[20:21]
	v_fma_f64 v[18:19], v[50:51], s[16:17], v[141:142]
	v_fma_f64 v[22:23], v[46:47], s[26:27], v[151:152]
	v_add_f64 v[20:21], v[149:150], v[147:148]
	v_mul_f64 v[135:136], v[81:82], s[14:15]
	v_mul_f64 v[137:138], v[91:92], s[6:7]
	v_fma_f64 v[133:134], v[117:118], s[18:19], -v[133:134]
	v_add_f64 v[12:13], v[12:13], v[10:11]
	v_fma_f64 v[10:11], v[52:53], s[44:45], v[129:130]
	v_add_f64 v[14:15], v[18:19], v[14:15]
	v_fma_f64 v[18:19], v[119:120], s[22:23], v[131:132]
	;; [unrolled: 2-line block ×3, first 2 shown]
	v_mul_f64 v[129:130], v[69:70], s[20:21]
	v_fma_f64 v[131:132], v[77:78], s[12:13], v[137:138]
	v_mul_f64 v[147:148], v[28:29], s[34:35]
	v_fma_f64 v[139:140], v[79:80], s[44:45], v[139:140]
	v_fma_f64 v[16:17], v[109:110], s[40:41], -v[16:17]
	v_add_f64 v[18:19], v[2:3], v[18:19]
	v_fma_f64 v[145:146], v[48:49], s[40:41], -v[145:146]
	v_add_f64 v[20:21], v[22:23], v[20:21]
	v_fma_f64 v[22:23], v[44:45], s[6:7], v[129:130]
	v_add_f64 v[133:134], v[0:1], v[133:134]
	v_add_f64 v[14:15], v[131:132], v[14:15]
	v_fma_f64 v[131:132], v[52:53], s[38:39], v[147:148]
	v_add_f64 v[10:11], v[10:11], v[8:9]
	v_add_f64 v[18:19], v[139:140], v[18:19]
	v_fma_f64 v[139:140], v[75:76], s[28:29], v[143:144]
	v_mul_f64 v[143:144], v[123:124], s[34:35]
	v_add_f64 v[8:9], v[16:17], v[12:13]
	v_add_f64 v[12:13], v[22:23], v[20:21]
	;; [unrolled: 1-line block ×3, first 2 shown]
	v_fma_f64 v[20:21], v[46:47], s[26:27], -v[151:152]
	v_add_f64 v[14:15], v[131:132], v[14:15]
	v_fma_f64 v[131:132], v[50:51], s[14:15], v[141:142]
	v_add_f64 v[18:19], v[139:140], v[18:19]
	v_fma_f64 v[133:134], v[119:120], s[38:39], v[143:144]
	v_mul_f64 v[139:140], v[111:112], s[18:19]
	v_mul_f64 v[149:150], v[107:108], s[6:7]
	;; [unrolled: 1-line block ×3, first 2 shown]
	v_add_f64 v[16:17], v[20:21], v[16:17]
	v_fma_f64 v[20:21], v[42:43], s[10:11], -v[135:136]
	v_fma_f64 v[129:130], v[44:45], s[6:7], -v[129:130]
	v_add_f64 v[18:19], v[131:132], v[18:19]
	v_add_f64 v[131:132], v[2:3], v[133:134]
	v_fma_f64 v[133:134], v[79:80], s[22:23], v[139:140]
	v_mul_f64 v[153:154], v[101:102], s[40:41]
	v_fma_f64 v[155:156], v[109:110], s[34:35], v[141:142]
	v_fma_f64 v[141:142], v[109:110], s[34:35], -v[141:142]
	v_add_f64 v[16:17], v[20:21], v[16:17]
	v_mul_f64 v[22:23], v[121:122], s[36:37]
	v_mul_f64 v[145:146], v[89:90], s[24:25]
	v_fma_f64 v[137:138], v[77:78], s[20:21], v[137:138]
	v_add_f64 v[131:132], v[133:134], v[131:132]
	v_fma_f64 v[133:134], v[75:76], s[12:13], v[149:150]
	v_add_f64 v[12:13], v[155:156], v[12:13]
	v_mul_f64 v[155:156], v[123:124], s[40:41]
	v_add_f64 v[16:17], v[129:130], v[16:17]
	v_fma_f64 v[135:136], v[117:118], s[34:35], v[22:23]
	v_fma_f64 v[22:23], v[117:118], s[34:35], -v[22:23]
	v_mul_f64 v[151:152], v[87:88], s[20:21]
	v_mul_f64 v[163:164], v[111:112], s[10:11]
	v_add_f64 v[129:130], v[133:134], v[131:132]
	v_fma_f64 v[131:132], v[50:51], s[44:45], v[153:154]
	v_mul_f64 v[133:134], v[91:92], s[10:11]
	v_add_f64 v[16:17], v[141:142], v[16:17]
	v_fma_f64 v[141:142], v[119:120], s[36:37], v[143:144]
	v_add_f64 v[20:21], v[0:1], v[135:136]
	v_fma_f64 v[135:136], v[48:49], s[18:19], v[145:146]
	v_fma_f64 v[161:162], v[119:120], s[44:45], v[155:156]
	v_mul_f64 v[165:166], v[89:90], s[16:17]
	v_add_f64 v[129:130], v[131:132], v[129:130]
	v_fma_f64 v[131:132], v[77:78], s[16:17], v[133:134]
	v_fma_f64 v[145:146], v[48:49], s[18:19], -v[145:146]
	v_add_f64 v[22:23], v[0:1], v[22:23]
	v_add_f64 v[18:19], v[137:138], v[18:19]
	;; [unrolled: 1-line block ×3, first 2 shown]
	v_fma_f64 v[135:136], v[46:47], s[6:7], v[151:152]
	v_mul_f64 v[137:138], v[81:82], s[42:43]
	v_fma_f64 v[149:150], v[75:76], s[20:21], v[149:150]
	v_add_f64 v[129:130], v[131:132], v[129:130]
	v_fma_f64 v[131:132], v[79:80], s[24:25], v[139:140]
	v_add_f64 v[139:140], v[2:3], v[141:142]
	v_mul_f64 v[141:142], v[121:122], s[42:43]
	v_add_f64 v[161:162], v[2:3], v[161:162]
	v_fma_f64 v[167:168], v[79:80], s[14:15], v[163:164]
	v_mul_f64 v[169:170], v[107:108], s[34:35]
	v_fma_f64 v[171:172], v[48:49], s[10:11], v[165:166]
	v_mul_f64 v[173:174], v[87:88], s[38:39]
	v_add_f64 v[22:23], v[145:146], v[22:23]
	v_add_f64 v[131:132], v[131:132], v[139:140]
	v_fma_f64 v[139:140], v[117:118], s[40:41], v[141:142]
	v_fma_f64 v[145:146], v[46:47], s[6:7], -v[151:152]
	v_fma_f64 v[147:148], v[52:53], s[36:37], v[147:148]
	v_add_f64 v[20:21], v[135:136], v[20:21]
	v_fma_f64 v[135:136], v[42:43], s[40:41], v[137:138]
	v_mul_f64 v[157:158], v[69:70], s[14:15]
	v_fma_f64 v[151:152], v[75:76], s[36:37], v[169:170]
	v_add_f64 v[131:132], v[149:150], v[131:132]
	v_add_f64 v[139:140], v[0:1], v[139:140]
	;; [unrolled: 1-line block ×3, first 2 shown]
	v_mul_f64 v[161:162], v[101:102], s[6:7]
	v_fma_f64 v[167:168], v[46:47], s[34:35], v[173:174]
	v_fma_f64 v[153:154], v[50:51], s[42:43], v[153:154]
	v_add_f64 v[22:23], v[145:146], v[22:23]
	v_fma_f64 v[137:138], v[42:43], s[40:41], -v[137:138]
	v_add_f64 v[18:19], v[147:148], v[18:19]
	v_add_f64 v[139:140], v[171:172], v[139:140]
	v_mul_f64 v[171:172], v[81:82], s[20:21]
	v_add_f64 v[20:21], v[135:136], v[20:21]
	v_fma_f64 v[135:136], v[44:45], s[10:11], v[157:158]
	v_mul_f64 v[143:144], v[28:29], s[26:27]
	v_mul_f64 v[147:148], v[93:94], s[30:31]
	v_add_f64 v[145:146], v[151:152], v[149:150]
	v_fma_f64 v[149:150], v[50:51], s[12:13], v[161:162]
	v_mul_f64 v[151:152], v[91:92], s[26:27]
	v_add_f64 v[139:140], v[167:168], v[139:140]
	v_fma_f64 v[167:168], v[42:43], s[6:7], v[171:172]
	v_add_f64 v[131:132], v[153:154], v[131:132]
	v_mul_f64 v[153:154], v[69:70], s[28:29]
	v_fma_f64 v[133:134], v[77:78], s[14:15], v[133:134]
	v_add_f64 v[22:23], v[137:138], v[22:23]
	v_fma_f64 v[137:138], v[44:45], s[10:11], -v[157:158]
	v_add_f64 v[20:21], v[135:136], v[20:21]
	v_fma_f64 v[135:136], v[52:53], s[28:29], v[143:144]
	v_add_f64 v[145:146], v[149:150], v[145:146]
	v_fma_f64 v[149:150], v[77:78], s[30:31], v[151:152]
	v_add_f64 v[139:140], v[167:168], v[139:140]
	v_mul_f64 v[157:158], v[28:29], s[18:19]
	v_fma_f64 v[167:168], v[44:45], s[26:27], v[153:154]
	v_mul_f64 v[175:176], v[93:94], s[22:23]
	v_add_f64 v[131:132], v[133:134], v[131:132]
	v_add_f64 v[133:134], v[137:138], v[22:23]
	v_fma_f64 v[137:138], v[52:53], s[30:31], v[143:144]
	v_fma_f64 v[143:144], v[109:110], s[26:27], -v[147:148]
	v_fma_f64 v[159:160], v[109:110], s[26:27], v[147:148]
	v_add_f64 v[145:146], v[149:150], v[145:146]
	v_fma_f64 v[147:148], v[52:53], s[24:25], v[157:158]
	v_add_f64 v[139:140], v[167:168], v[139:140]
	;; [unrolled: 2-line block ×3, first 2 shown]
	v_mul_f64 v[167:168], v[123:124], s[26:27]
	v_add_f64 v[131:132], v[137:138], v[131:132]
	v_add_f64 v[129:130], v[143:144], v[133:134]
	v_fma_f64 v[137:138], v[119:120], s[42:43], v[155:156]
	v_mul_f64 v[123:124], v[123:124], s[6:7]
	v_mul_f64 v[143:144], v[121:122], s[28:29]
	;; [unrolled: 1-line block ×3, first 2 shown]
	v_add_f64 v[135:136], v[147:148], v[145:146]
	v_add_f64 v[133:134], v[149:150], v[139:140]
	v_fma_f64 v[139:140], v[119:120], s[30:31], v[167:168]
	v_fma_f64 v[145:146], v[119:120], s[28:29], v[167:168]
	v_fma_f64 v[141:142], v[117:118], s[40:41], -v[141:142]
	v_add_f64 v[137:138], v[2:3], v[137:138]
	v_fma_f64 v[147:148], v[79:80], s[16:17], v[163:164]
	v_fma_f64 v[149:150], v[119:120], s[20:21], v[123:124]
	;; [unrolled: 1-line block ×4, first 2 shown]
	v_fma_f64 v[143:144], v[117:118], s[26:27], -v[143:144]
	v_fma_f64 v[155:156], v[117:118], s[6:7], v[121:122]
	v_fma_f64 v[117:118], v[117:118], s[6:7], -v[121:122]
	v_add_f64 v[121:122], v[0:1], v[141:142]
	v_add_f64 v[137:138], v[147:148], v[137:138]
	;; [unrolled: 1-line block ×12, first 2 shown]
	v_fma_f64 v[141:142], v[75:76], s[38:39], v[169:170]
	v_add_f64 v[20:21], v[159:160], v[20:21]
	v_fma_f64 v[155:156], v[48:49], s[10:11], -v[165:166]
	v_mul_f64 v[159:160], v[111:112], s[34:35]
	v_mul_f64 v[115:116], v[89:90], s[36:37]
	;; [unrolled: 1-line block ×3, first 2 shown]
	v_add_f64 v[2:3], v[2:3], v[103:104]
	v_add_f64 v[0:1], v[0:1], v[105:106]
	;; [unrolled: 1-line block ×3, first 2 shown]
	v_fma_f64 v[141:142], v[50:51], s[20:21], v[161:162]
	v_add_f64 v[121:122], v[155:156], v[121:122]
	v_fma_f64 v[155:156], v[46:47], s[34:35], -v[173:174]
	v_mul_f64 v[161:162], v[107:108], s[10:11]
	v_fma_f64 v[113:114], v[48:49], s[34:35], v[115:116]
	v_add_f64 v[2:3], v[2:3], v[95:96]
	v_add_f64 v[0:1], v[0:1], v[97:98]
	v_fma_f64 v[115:116], v[48:49], s[34:35], -v[115:116]
	v_add_f64 v[137:138], v[141:142], v[137:138]
	v_fma_f64 v[141:142], v[77:78], s[28:29], v[151:152]
	v_fma_f64 v[151:152], v[79:80], s[38:39], v[159:160]
	v_add_f64 v[121:122], v[155:156], v[121:122]
	v_fma_f64 v[155:156], v[42:43], s[6:7], -v[171:172]
	v_add_f64 v[2:3], v[2:3], v[83:84]
	v_add_f64 v[0:1], v[0:1], v[85:86]
	v_mul_f64 v[83:84], v[89:90], s[28:29]
	v_mul_f64 v[111:112], v[111:112], s[26:27]
	v_add_f64 v[137:138], v[141:142], v[137:138]
	v_add_f64 v[139:140], v[151:152], v[139:140]
	v_fma_f64 v[141:142], v[75:76], s[14:15], v[161:162]
	v_mul_f64 v[151:152], v[101:102], s[18:19]
	v_add_f64 v[2:3], v[2:3], v[71:72]
	v_add_f64 v[0:1], v[0:1], v[73:74]
	;; [unrolled: 1-line block ×3, first 2 shown]
	v_fma_f64 v[155:156], v[79:80], s[36:37], v[159:160]
	v_mul_f64 v[159:160], v[91:92], s[40:41]
	v_fma_f64 v[71:72], v[48:49], s[26:27], v[83:84]
	v_add_f64 v[139:140], v[141:142], v[139:140]
	v_fma_f64 v[141:142], v[50:51], s[22:23], v[151:152]
	v_add_f64 v[2:3], v[2:3], v[67:68]
	v_add_f64 v[0:1], v[0:1], v[99:100]
	v_mul_f64 v[73:74], v[87:88], s[42:43]
	v_mul_f64 v[165:166], v[81:82], s[24:25]
	v_add_f64 v[115:116], v[115:116], v[143:144]
	v_fma_f64 v[103:104], v[46:47], s[10:11], -v[163:164]
	v_mul_f64 v[107:108], v[107:108], s[40:41]
	v_add_f64 v[139:140], v[141:142], v[139:140]
	v_fma_f64 v[141:142], v[77:78], s[42:43], v[159:160]
	v_add_f64 v[2:3], v[2:3], v[65:66]
	v_add_f64 v[0:1], v[0:1], v[56:57]
	;; [unrolled: 1-line block ×3, first 2 shown]
	v_fma_f64 v[71:72], v[46:47], s[40:41], v[73:74]
	v_mul_f64 v[81:82], v[81:82], s[36:37]
	v_fma_f64 v[48:49], v[48:49], s[26:27], -v[83:84]
	v_add_f64 v[113:114], v[113:114], v[123:124]
	v_add_f64 v[105:106], v[141:142], v[139:140]
	v_fma_f64 v[139:140], v[79:80], s[30:31], v[111:112]
	v_fma_f64 v[79:80], v[79:80], s[28:29], v[111:112]
	;; [unrolled: 1-line block ×3, first 2 shown]
	v_add_f64 v[2:3], v[2:3], v[34:35]
	v_add_f64 v[0:1], v[0:1], v[32:33]
	;; [unrolled: 1-line block ×3, first 2 shown]
	v_fma_f64 v[155:156], v[75:76], s[16:17], v[161:162]
	v_add_f64 v[95:96], v[103:104], v[115:116]
	v_fma_f64 v[97:98], v[42:43], s[18:19], -v[165:166]
	v_fma_f64 v[115:116], v[75:76], s[44:45], v[107:108]
	v_mul_f64 v[101:102], v[101:102], s[34:35]
	v_fma_f64 v[75:76], v[75:76], s[42:43], v[107:108]
	v_add_f64 v[79:80], v[79:80], v[119:120]
	v_add_f64 v[56:57], v[71:72], v[67:68]
	v_fma_f64 v[65:66], v[42:43], s[34:35], v[81:82]
	v_fma_f64 v[46:47], v[46:47], s[40:41], -v[73:74]
	v_add_f64 v[48:49], v[48:49], v[117:118]
	v_add_f64 v[113:114], v[123:124], v[113:114]
	v_fma_f64 v[123:124], v[42:43], s[18:19], v[165:166]
	v_mul_f64 v[167:168], v[69:70], s[44:45]
	v_add_f64 v[103:104], v[139:140], v[147:148]
	v_add_f64 v[2:3], v[2:3], v[54:55]
	;; [unrolled: 1-line block ×3, first 2 shown]
	v_fma_f64 v[151:152], v[50:51], s[24:25], v[151:152]
	v_add_f64 v[85:86], v[97:98], v[95:96]
	v_fma_f64 v[97:98], v[50:51], s[38:39], v[101:102]
	v_mul_f64 v[87:88], v[91:92], s[18:19]
	v_fma_f64 v[50:51], v[50:51], s[36:37], v[101:102]
	v_add_f64 v[32:33], v[75:76], v[79:80]
	v_add_f64 v[34:35], v[65:66], v[56:57]
	v_mul_f64 v[56:57], v[69:70], s[22:23]
	v_fma_f64 v[42:43], v[42:43], s[34:35], -v[81:82]
	v_add_f64 v[46:47], v[46:47], v[48:49]
	v_mul_f64 v[48:49], v[28:29], s[6:7]
	v_mul_f64 v[28:29], v[28:29], s[10:11]
	v_add_f64 v[113:114], v[123:124], v[113:114]
	v_fma_f64 v[123:124], v[44:45], s[40:41], v[167:168]
	v_add_f64 v[145:146], v[155:156], v[145:146]
	v_fma_f64 v[89:90], v[44:45], s[40:41], -v[167:168]
	v_add_f64 v[95:96], v[115:116], v[103:104]
	v_add_f64 v[2:3], v[2:3], v[38:39]
	;; [unrolled: 1-line block ×3, first 2 shown]
	v_fma_f64 v[153:154], v[44:45], s[26:27], -v[153:154]
	v_fma_f64 v[65:66], v[77:78], s[22:23], v[87:88]
	v_add_f64 v[32:33], v[50:51], v[32:33]
	v_fma_f64 v[50:51], v[44:45], s[18:19], v[56:57]
	v_fma_f64 v[44:45], v[44:45], s[18:19], -v[56:57]
	v_add_f64 v[42:43], v[42:43], v[46:47]
	v_fma_f64 v[38:39], v[52:53], s[22:23], v[157:158]
	v_fma_f64 v[40:41], v[52:53], s[12:13], v[48:49]
	;; [unrolled: 1-line block ×5, first 2 shown]
	v_mul_f64 v[28:29], v[93:94], s[16:17]
	v_add_f64 v[113:114], v[123:124], v[113:114]
	v_add_f64 v[123:124], v[151:152], v[145:146]
	v_fma_f64 v[139:140], v[77:78], s[44:45], v[159:160]
	v_mul_f64 v[54:55], v[93:94], s[20:21]
	v_add_f64 v[85:86], v[89:90], v[85:86]
	v_add_f64 v[89:90], v[97:98], v[95:96]
	v_fma_f64 v[91:92], v[77:78], s[24:25], v[87:88]
	v_add_f64 v[30:31], v[2:3], v[30:31]
	v_add_f64 v[0:1], v[0:1], v[36:37]
	;; [unrolled: 1-line block ×4, first 2 shown]
	v_fma_f64 v[58:59], v[109:110], s[10:11], -v[28:29]
	v_add_f64 v[103:104], v[139:140], v[123:124]
	v_fma_f64 v[56:57], v[109:110], s[6:7], v[54:55]
	v_fma_f64 v[54:55], v[109:110], s[6:7], -v[54:55]
	v_add_f64 v[121:122], v[153:154], v[121:122]
	v_fma_f64 v[44:45], v[109:110], s[18:19], -v[175:176]
	v_add_f64 v[67:68], v[91:92], v[89:90]
	v_fma_f64 v[65:66], v[109:110], s[10:11], v[28:29]
	v_add_f64 v[50:51], v[50:51], v[34:35]
	v_add_f64 v[36:37], v[30:31], v[24:25]
	;; [unrolled: 1-line block ×13, first 2 shown]
	ds_write_b128 v125, v[34:37]
	ds_write_b128 v127, v[30:33] offset:800
	ds_write_b128 v127, v[26:29] offset:1600
	;; [unrolled: 1-line block ×12, first 2 shown]
.LBB0_16:
	s_or_b64 exec, exec, s[4:5]
	s_waitcnt lgkmcnt(0)
	s_barrier
	ds_read_b128 v[4:7], v125
	s_add_u32 s6, s8, 0x2800
	s_addc_u32 s7, s9, 0
	v_sub_u32_e32 v14, v61, v126
	v_cmp_ne_u32_e32 vcc, 0, v60
                                        ; implicit-def: $vgpr0_vgpr1
                                        ; implicit-def: $vgpr8_vgpr9
                                        ; implicit-def: $vgpr10_vgpr11
                                        ; implicit-def: $vgpr12_vgpr13
	s_and_saveexec_b64 s[4:5], vcc
	s_xor_b64 s[4:5], exec, s[4:5]
	s_cbranch_execz .LBB0_18
; %bb.17:
	v_mov_b32_e32 v61, 0
	v_lshlrev_b64 v[0:1], 4, v[60:61]
	v_mov_b32_e32 v2, s7
	v_add_co_u32_e32 v0, vcc, s6, v0
	v_addc_co_u32_e32 v1, vcc, v2, v1, vcc
	global_load_dwordx4 v[15:18], v[0:1], off
	ds_read_b128 v[0:3], v14 offset:10400
	s_waitcnt lgkmcnt(0)
	v_add_f64 v[8:9], v[4:5], -v[0:1]
	v_add_f64 v[10:11], v[6:7], v[2:3]
	v_add_f64 v[2:3], v[6:7], -v[2:3]
	v_add_f64 v[0:1], v[4:5], v[0:1]
	v_mul_f64 v[6:7], v[8:9], 0.5
	v_mul_f64 v[4:5], v[10:11], 0.5
	;; [unrolled: 1-line block ×3, first 2 shown]
	s_waitcnt vmcnt(0)
	v_mul_f64 v[8:9], v[6:7], v[17:18]
	v_fma_f64 v[10:11], v[4:5], v[17:18], v[2:3]
	v_fma_f64 v[2:3], v[4:5], v[17:18], -v[2:3]
	v_fma_f64 v[12:13], v[0:1], 0.5, v[8:9]
	v_fma_f64 v[0:1], v[0:1], 0.5, -v[8:9]
	v_fma_f64 v[10:11], -v[15:16], v[6:7], v[10:11]
	v_fma_f64 v[2:3], -v[15:16], v[6:7], v[2:3]
	v_fma_f64 v[8:9], v[4:5], v[15:16], v[12:13]
	v_mov_b32_e32 v12, v60
	v_fma_f64 v[0:1], -v[4:5], v[15:16], v[0:1]
	v_mov_b32_e32 v13, v61
                                        ; implicit-def: $vgpr4_vgpr5
                                        ; implicit-def: $vgpr61
.LBB0_18:
	s_andn2_saveexec_b64 s[4:5], s[4:5]
	s_cbranch_execz .LBB0_20
; %bb.19:
	s_waitcnt lgkmcnt(0)
	v_add_f64 v[8:9], v[4:5], v[6:7]
	ds_read_b64 v[2:3], v61 offset:5208
	v_add_f64 v[0:1], v[4:5], -v[6:7]
	v_mov_b32_e32 v10, 0
	v_mov_b32_e32 v11, 0
	;; [unrolled: 1-line block ×3, first 2 shown]
	s_waitcnt lgkmcnt(0)
	v_xor_b32_e32 v3, 0x80000000, v3
	ds_write_b64 v61, v[2:3] offset:5208
	v_mov_b32_e32 v2, v10
	v_mov_b32_e32 v13, 0
	;; [unrolled: 1-line block ×3, first 2 shown]
.LBB0_20:
	s_or_b64 exec, exec, s[4:5]
	v_mov_b32_e32 v65, 0
	s_waitcnt lgkmcnt(0)
	v_lshlrev_b64 v[4:5], 4, v[64:65]
	v_mov_b32_e32 v6, s7
	v_add_co_u32_e32 v4, vcc, s6, v4
	v_addc_co_u32_e32 v5, vcc, v6, v5, vcc
	global_load_dwordx4 v[15:18], v[4:5], off
	v_lshlrev_b64 v[4:5], 4, v[12:13]
	s_movk_i32 s4, 0x1000
	v_add_co_u32_e32 v23, vcc, s6, v4
	v_addc_co_u32_e32 v24, vcc, v6, v5, vcc
	global_load_dwordx4 v[19:22], v[23:24], off offset:2080
	ds_write2_b64 v125, v[8:9], v[10:11] offset1:1
	ds_write_b128 v14, v[0:3] offset:10400
	ds_read_b128 v[0:3], v128
	ds_read_b128 v[6:9], v14 offset:9360
	s_waitcnt lgkmcnt(0)
	v_add_f64 v[10:11], v[0:1], -v[6:7]
	v_add_f64 v[12:13], v[2:3], v[8:9]
	v_add_f64 v[2:3], v[2:3], -v[8:9]
	v_add_f64 v[0:1], v[0:1], v[6:7]
	v_mul_f64 v[8:9], v[10:11], 0.5
	v_mul_f64 v[10:11], v[12:13], 0.5
	;; [unrolled: 1-line block ×3, first 2 shown]
	s_waitcnt vmcnt(1)
	v_mul_f64 v[6:7], v[8:9], v[17:18]
	v_fma_f64 v[12:13], v[10:11], v[17:18], v[2:3]
	v_fma_f64 v[17:18], v[10:11], v[17:18], -v[2:3]
	v_fma_f64 v[25:26], v[0:1], 0.5, v[6:7]
	v_fma_f64 v[6:7], v[0:1], 0.5, -v[6:7]
	global_load_dwordx4 v[0:3], v[23:24], off offset:3120
	v_fma_f64 v[12:13], -v[15:16], v[8:9], v[12:13]
	v_fma_f64 v[8:9], -v[15:16], v[8:9], v[17:18]
	v_fma_f64 v[17:18], v[10:11], v[15:16], v[25:26]
	v_fma_f64 v[6:7], -v[10:11], v[15:16], v[6:7]
	ds_write2_b64 v128, v[17:18], v[12:13] offset1:1
	ds_write_b128 v14, v[6:9] offset:9360
	ds_read_b128 v[6:9], v125 offset:2080
	ds_read_b128 v[10:13], v14 offset:8320
	s_waitcnt lgkmcnt(0)
	v_add_f64 v[15:16], v[6:7], -v[10:11]
	v_add_f64 v[17:18], v[8:9], v[12:13]
	v_add_f64 v[8:9], v[8:9], -v[12:13]
	v_add_f64 v[6:7], v[6:7], v[10:11]
	v_mul_f64 v[12:13], v[15:16], 0.5
	v_mul_f64 v[15:16], v[17:18], 0.5
	;; [unrolled: 1-line block ×3, first 2 shown]
	s_waitcnt vmcnt(1)
	v_mul_f64 v[10:11], v[12:13], v[21:22]
	v_fma_f64 v[17:18], v[15:16], v[21:22], v[8:9]
	v_fma_f64 v[21:22], v[15:16], v[21:22], -v[8:9]
	v_fma_f64 v[25:26], v[6:7], 0.5, v[10:11]
	v_fma_f64 v[10:11], v[6:7], 0.5, -v[10:11]
	v_add_co_u32_e32 v6, vcc, s4, v23
	v_addc_co_u32_e32 v7, vcc, 0, v24, vcc
	global_load_dwordx4 v[6:9], v[6:7], off offset:64
	v_fma_f64 v[17:18], -v[19:20], v[12:13], v[17:18]
	v_fma_f64 v[12:13], -v[19:20], v[12:13], v[21:22]
	v_fma_f64 v[21:22], v[15:16], v[19:20], v[25:26]
	v_fma_f64 v[10:11], -v[15:16], v[19:20], v[10:11]
	v_add_u32_e32 v23, 0x800, v125
	ds_write2_b64 v23, v[21:22], v[17:18] offset0:4 offset1:5
	ds_write_b128 v14, v[10:13] offset:8320
	ds_read_b128 v[10:13], v125 offset:3120
	ds_read_b128 v[15:18], v14 offset:7280
	s_waitcnt lgkmcnt(0)
	v_add_f64 v[19:20], v[10:11], -v[15:16]
	v_add_f64 v[21:22], v[12:13], v[17:18]
	v_add_f64 v[12:13], v[12:13], -v[17:18]
	v_add_f64 v[10:11], v[10:11], v[15:16]
	v_mul_f64 v[17:18], v[19:20], 0.5
	v_mul_f64 v[19:20], v[21:22], 0.5
	;; [unrolled: 1-line block ×3, first 2 shown]
	s_waitcnt vmcnt(1)
	v_mul_f64 v[15:16], v[17:18], v[2:3]
	v_fma_f64 v[21:22], v[19:20], v[2:3], v[12:13]
	v_fma_f64 v[2:3], v[19:20], v[2:3], -v[12:13]
	v_fma_f64 v[12:13], v[10:11], 0.5, v[15:16]
	v_fma_f64 v[10:11], v[10:11], 0.5, -v[15:16]
	v_fma_f64 v[15:16], -v[0:1], v[17:18], v[21:22]
	v_fma_f64 v[2:3], -v[0:1], v[17:18], v[2:3]
	v_fma_f64 v[12:13], v[19:20], v[0:1], v[12:13]
	v_fma_f64 v[0:1], -v[19:20], v[0:1], v[10:11]
	ds_write2_b64 v23, v[12:13], v[15:16] offset0:134 offset1:135
	ds_write_b128 v14, v[0:3] offset:7280
	ds_read_b128 v[0:3], v125 offset:4160
	ds_read_b128 v[10:13], v14 offset:6240
	s_waitcnt lgkmcnt(0)
	v_add_f64 v[15:16], v[0:1], -v[10:11]
	v_add_f64 v[17:18], v[2:3], v[12:13]
	v_add_f64 v[2:3], v[2:3], -v[12:13]
	v_add_f64 v[0:1], v[0:1], v[10:11]
	v_mul_f64 v[12:13], v[15:16], 0.5
	v_mul_f64 v[15:16], v[17:18], 0.5
	;; [unrolled: 1-line block ×3, first 2 shown]
	s_waitcnt vmcnt(0)
	v_mul_f64 v[10:11], v[12:13], v[8:9]
	v_fma_f64 v[17:18], v[15:16], v[8:9], v[2:3]
	v_fma_f64 v[2:3], v[15:16], v[8:9], -v[2:3]
	v_fma_f64 v[8:9], v[0:1], 0.5, v[10:11]
	v_fma_f64 v[0:1], v[0:1], 0.5, -v[10:11]
	v_fma_f64 v[10:11], -v[6:7], v[12:13], v[17:18]
	v_fma_f64 v[2:3], -v[6:7], v[12:13], v[2:3]
	v_fma_f64 v[8:9], v[15:16], v[6:7], v[8:9]
	v_fma_f64 v[0:1], -v[15:16], v[6:7], v[0:1]
	v_add_u32_e32 v6, 0x1000, v125
	ds_write2_b64 v6, v[8:9], v[10:11] offset0:8 offset1:9
	ds_write_b128 v14, v[0:3] offset:6240
	s_waitcnt lgkmcnt(0)
	s_barrier
	s_and_saveexec_b64 s[6:7], s[0:1]
	s_cbranch_execz .LBB0_23
; %bb.21:
	ds_read_b128 v[6:9], v125
	ds_read_b128 v[10:13], v125 offset:1040
	ds_read_b128 v[14:17], v125 offset:2080
	;; [unrolled: 1-line block ×3, first 2 shown]
	v_mov_b32_e32 v0, s3
	v_add_co_u32_e32 v1, vcc, s2, v62
	v_addc_co_u32_e32 v0, vcc, v0, v63, vcc
	v_add_co_u32_e32 v22, vcc, v1, v4
	v_addc_co_u32_e32 v23, vcc, v0, v5, vcc
	s_waitcnt lgkmcnt(3)
	global_store_dwordx4 v[22:23], v[6:9], off
	s_waitcnt lgkmcnt(2)
	global_store_dwordx4 v[22:23], v[10:13], off offset:1040
	s_waitcnt lgkmcnt(1)
	global_store_dwordx4 v[22:23], v[14:17], off offset:2080
	;; [unrolled: 2-line block ×3, first 2 shown]
	ds_read_b128 v[2:5], v125 offset:4160
	ds_read_b128 v[6:9], v125 offset:5200
	;; [unrolled: 1-line block ×4, first 2 shown]
	v_add_co_u32_e32 v18, vcc, s4, v22
	v_addc_co_u32_e32 v19, vcc, 0, v23, vcc
	s_waitcnt lgkmcnt(3)
	global_store_dwordx4 v[18:19], v[2:5], off offset:64
	s_waitcnt lgkmcnt(2)
	global_store_dwordx4 v[18:19], v[6:9], off offset:1104
	;; [unrolled: 2-line block ×4, first 2 shown]
	ds_read_b128 v[2:5], v125 offset:8320
	ds_read_b128 v[6:9], v125 offset:9360
	v_add_co_u32_e32 v10, vcc, 0x2000, v22
	v_addc_co_u32_e32 v11, vcc, 0, v23, vcc
	v_cmp_eq_u32_e32 vcc, 64, v60
	s_waitcnt lgkmcnt(1)
	global_store_dwordx4 v[10:11], v[2:5], off offset:128
	s_waitcnt lgkmcnt(0)
	global_store_dwordx4 v[10:11], v[6:9], off offset:1168
	s_and_b64 exec, exec, vcc
	s_cbranch_execz .LBB0_23
; %bb.22:
	ds_read_b128 v[2:5], v125 offset:9376
	v_add_co_u32_e32 v6, vcc, 0x2000, v1
	v_addc_co_u32_e32 v7, vcc, 0, v0, vcc
	s_waitcnt lgkmcnt(0)
	global_store_dwordx4 v[6:7], v[2:5], off offset:2208
.LBB0_23:
	s_endpgm
	.section	.rodata,"a",@progbits
	.p2align	6, 0x0
	.amdhsa_kernel fft_rtc_fwd_len650_factors_10_5_13_wgs_195_tpt_65_dp_ip_CI_unitstride_sbrr_R2C_dirReg
		.amdhsa_group_segment_fixed_size 0
		.amdhsa_private_segment_fixed_size 0
		.amdhsa_kernarg_size 88
		.amdhsa_user_sgpr_count 6
		.amdhsa_user_sgpr_private_segment_buffer 1
		.amdhsa_user_sgpr_dispatch_ptr 0
		.amdhsa_user_sgpr_queue_ptr 0
		.amdhsa_user_sgpr_kernarg_segment_ptr 1
		.amdhsa_user_sgpr_dispatch_id 0
		.amdhsa_user_sgpr_flat_scratch_init 0
		.amdhsa_user_sgpr_private_segment_size 0
		.amdhsa_uses_dynamic_stack 0
		.amdhsa_system_sgpr_private_segment_wavefront_offset 0
		.amdhsa_system_sgpr_workgroup_id_x 1
		.amdhsa_system_sgpr_workgroup_id_y 0
		.amdhsa_system_sgpr_workgroup_id_z 0
		.amdhsa_system_sgpr_workgroup_info 0
		.amdhsa_system_vgpr_workitem_id 0
		.amdhsa_next_free_vgpr 177
		.amdhsa_next_free_sgpr 46
		.amdhsa_reserve_vcc 1
		.amdhsa_reserve_flat_scratch 0
		.amdhsa_float_round_mode_32 0
		.amdhsa_float_round_mode_16_64 0
		.amdhsa_float_denorm_mode_32 3
		.amdhsa_float_denorm_mode_16_64 3
		.amdhsa_dx10_clamp 1
		.amdhsa_ieee_mode 1
		.amdhsa_fp16_overflow 0
		.amdhsa_exception_fp_ieee_invalid_op 0
		.amdhsa_exception_fp_denorm_src 0
		.amdhsa_exception_fp_ieee_div_zero 0
		.amdhsa_exception_fp_ieee_overflow 0
		.amdhsa_exception_fp_ieee_underflow 0
		.amdhsa_exception_fp_ieee_inexact 0
		.amdhsa_exception_int_div_zero 0
	.end_amdhsa_kernel
	.text
.Lfunc_end0:
	.size	fft_rtc_fwd_len650_factors_10_5_13_wgs_195_tpt_65_dp_ip_CI_unitstride_sbrr_R2C_dirReg, .Lfunc_end0-fft_rtc_fwd_len650_factors_10_5_13_wgs_195_tpt_65_dp_ip_CI_unitstride_sbrr_R2C_dirReg
                                        ; -- End function
	.section	.AMDGPU.csdata,"",@progbits
; Kernel info:
; codeLenInByte = 10248
; NumSgprs: 50
; NumVgprs: 177
; ScratchSize: 0
; MemoryBound: 0
; FloatMode: 240
; IeeeMode: 1
; LDSByteSize: 0 bytes/workgroup (compile time only)
; SGPRBlocks: 6
; VGPRBlocks: 44
; NumSGPRsForWavesPerEU: 50
; NumVGPRsForWavesPerEU: 177
; Occupancy: 1
; WaveLimiterHint : 1
; COMPUTE_PGM_RSRC2:SCRATCH_EN: 0
; COMPUTE_PGM_RSRC2:USER_SGPR: 6
; COMPUTE_PGM_RSRC2:TRAP_HANDLER: 0
; COMPUTE_PGM_RSRC2:TGID_X_EN: 1
; COMPUTE_PGM_RSRC2:TGID_Y_EN: 0
; COMPUTE_PGM_RSRC2:TGID_Z_EN: 0
; COMPUTE_PGM_RSRC2:TIDIG_COMP_CNT: 0
	.type	__hip_cuid_3054f43b9ecc6358,@object ; @__hip_cuid_3054f43b9ecc6358
	.section	.bss,"aw",@nobits
	.globl	__hip_cuid_3054f43b9ecc6358
__hip_cuid_3054f43b9ecc6358:
	.byte	0                               ; 0x0
	.size	__hip_cuid_3054f43b9ecc6358, 1

	.ident	"AMD clang version 19.0.0git (https://github.com/RadeonOpenCompute/llvm-project roc-6.4.0 25133 c7fe45cf4b819c5991fe208aaa96edf142730f1d)"
	.section	".note.GNU-stack","",@progbits
	.addrsig
	.addrsig_sym __hip_cuid_3054f43b9ecc6358
	.amdgpu_metadata
---
amdhsa.kernels:
  - .args:
      - .actual_access:  read_only
        .address_space:  global
        .offset:         0
        .size:           8
        .value_kind:     global_buffer
      - .offset:         8
        .size:           8
        .value_kind:     by_value
      - .actual_access:  read_only
        .address_space:  global
        .offset:         16
        .size:           8
        .value_kind:     global_buffer
      - .actual_access:  read_only
        .address_space:  global
        .offset:         24
        .size:           8
        .value_kind:     global_buffer
      - .offset:         32
        .size:           8
        .value_kind:     by_value
      - .actual_access:  read_only
        .address_space:  global
        .offset:         40
        .size:           8
        .value_kind:     global_buffer
      - .actual_access:  read_only
        .address_space:  global
        .offset:         48
        .size:           8
        .value_kind:     global_buffer
      - .offset:         56
        .size:           4
        .value_kind:     by_value
      - .actual_access:  read_only
        .address_space:  global
        .offset:         64
        .size:           8
        .value_kind:     global_buffer
      - .actual_access:  read_only
        .address_space:  global
        .offset:         72
        .size:           8
        .value_kind:     global_buffer
      - .address_space:  global
        .offset:         80
        .size:           8
        .value_kind:     global_buffer
    .group_segment_fixed_size: 0
    .kernarg_segment_align: 8
    .kernarg_segment_size: 88
    .language:       OpenCL C
    .language_version:
      - 2
      - 0
    .max_flat_workgroup_size: 195
    .name:           fft_rtc_fwd_len650_factors_10_5_13_wgs_195_tpt_65_dp_ip_CI_unitstride_sbrr_R2C_dirReg
    .private_segment_fixed_size: 0
    .sgpr_count:     50
    .sgpr_spill_count: 0
    .symbol:         fft_rtc_fwd_len650_factors_10_5_13_wgs_195_tpt_65_dp_ip_CI_unitstride_sbrr_R2C_dirReg.kd
    .uniform_work_group_size: 1
    .uses_dynamic_stack: false
    .vgpr_count:     177
    .vgpr_spill_count: 0
    .wavefront_size: 64
amdhsa.target:   amdgcn-amd-amdhsa--gfx906
amdhsa.version:
  - 1
  - 2
...

	.end_amdgpu_metadata
